;; amdgpu-corpus repo=ROCm/rocFFT kind=compiled arch=gfx1030 opt=O3
	.text
	.amdgcn_target "amdgcn-amd-amdhsa--gfx1030"
	.amdhsa_code_object_version 6
	.protected	bluestein_single_fwd_len360_dim1_sp_op_CI_CI ; -- Begin function bluestein_single_fwd_len360_dim1_sp_op_CI_CI
	.globl	bluestein_single_fwd_len360_dim1_sp_op_CI_CI
	.p2align	8
	.type	bluestein_single_fwd_len360_dim1_sp_op_CI_CI,@function
bluestein_single_fwd_len360_dim1_sp_op_CI_CI: ; @bluestein_single_fwd_len360_dim1_sp_op_CI_CI
; %bb.0:
	s_load_dwordx4 s[0:3], s[4:5], 0x28
	v_mul_u32_u24_e32 v1, 0x445, v0
	v_mov_b32_e32 v37, 0
	v_lshrrev_b32_e32 v1, 16, v1
	v_lshl_add_u32 v36, s6, 2, v1
	s_waitcnt lgkmcnt(0)
	v_cmp_gt_u64_e32 vcc_lo, s[0:1], v[36:37]
	s_and_saveexec_b32 s0, vcc_lo
	s_cbranch_execz .LBB0_15
; %bb.1:
	v_mul_lo_u16 v2, v1, 60
	s_clause 0x1
	s_load_dwordx2 s[14:15], s[4:5], 0x0
	s_load_dwordx2 s[12:13], s[4:5], 0x38
	v_and_b32_e32 v1, 3, v1
	v_sub_nc_u16 v0, v0, v2
	v_mul_u32_u24_e32 v28, 0x168, v1
	v_and_b32_e32 v41, 0xffff, v0
	v_cmp_gt_u16_e32 vcc_lo, 36, v0
	v_lshlrev_b32_e32 v43, 3, v28
	v_lshlrev_b32_e32 v42, 3, v41
	s_and_saveexec_b32 s1, vcc_lo
	s_cbranch_execz .LBB0_3
; %bb.2:
	s_load_dwordx2 s[6:7], s[4:5], 0x18
	s_waitcnt lgkmcnt(0)
	v_add_co_u32 v24, s0, s14, v42
	v_add_co_ci_u32_e64 v25, null, s15, 0, s0
	v_add_nc_u32_e32 v48, v43, v42
	v_lshl_add_u32 v35, v41, 3, v43
	v_add_nc_u32_e32 v49, 0x400, v48
	s_load_dwordx4 s[8:11], s[6:7], 0x0
	s_waitcnt lgkmcnt(0)
	v_mad_u64_u32 v[0:1], null, s10, v36, 0
	v_mad_u64_u32 v[2:3], null, s8, v41, 0
	s_mul_i32 s6, s9, 0x120
	s_mul_hi_u32 s7, s8, 0x120
	s_add_i32 s7, s7, s6
	v_mad_u64_u32 v[4:5], null, s11, v36, v[1:2]
	v_mad_u64_u32 v[5:6], null, s9, v41, v[3:4]
	v_mov_b32_e32 v1, v4
	v_lshlrev_b64 v[0:1], 3, v[0:1]
	v_mov_b32_e32 v3, v5
	s_clause 0x7
	global_load_dwordx2 v[4:5], v42, s[14:15]
	global_load_dwordx2 v[6:7], v42, s[14:15] offset:288
	global_load_dwordx2 v[8:9], v42, s[14:15] offset:576
	;; [unrolled: 1-line block ×7, first 2 shown]
	v_lshlrev_b64 v[2:3], 3, v[2:3]
	v_add_co_u32 v0, s0, s2, v0
	v_add_co_ci_u32_e64 v1, s0, s3, v1, s0
	s_mul_i32 s2, s8, 0x120
	v_add_co_u32 v0, s0, v0, v2
	v_add_co_ci_u32_e64 v1, s0, v1, v3, s0
	v_add_co_u32 v2, s0, v0, s2
	v_add_co_ci_u32_e64 v3, s0, s7, v1, s0
	global_load_dwordx2 v[0:1], v[0:1], off
	v_add_co_u32 v20, s0, v2, s2
	v_add_co_ci_u32_e64 v21, s0, s7, v3, s0
	v_add_co_u32 v22, s0, v20, s2
	v_add_co_ci_u32_e64 v23, s0, s7, v21, s0
	;; [unrolled: 2-line block ×4, first 2 shown]
	s_clause 0x2
	global_load_dwordx2 v[2:3], v[2:3], off
	global_load_dwordx2 v[20:21], v[20:21], off
	;; [unrolled: 1-line block ×3, first 2 shown]
	v_add_co_u32 v29, s0, v26, s2
	v_add_co_ci_u32_e64 v30, s0, s7, v27, s0
	global_load_dwordx2 v[26:27], v[26:27], off
	v_add_co_u32 v31, s0, v29, s2
	v_add_co_ci_u32_e64 v32, s0, s7, v30, s0
	global_load_dwordx2 v[29:30], v[29:30], off
	;; [unrolled: 3-line block ×5, first 2 shown]
	s_clause 0x1
	global_load_dwordx2 v[44:45], v[24:25], off offset:256
	global_load_dwordx2 v[24:25], v[24:25], off offset:544
	global_load_dwordx2 v[39:40], v[39:40], off
	s_waitcnt vmcnt(11)
	v_mul_f32_e32 v46, v1, v5
	v_mul_f32_e32 v5, v0, v5
	v_fmac_f32_e32 v46, v0, v4
	v_fma_f32 v47, v1, v4, -v5
	ds_write_b64 v35, v[46:47]
	s_waitcnt vmcnt(10)
	v_mul_f32_e32 v1, v2, v7
	v_mul_f32_e32 v0, v3, v7
	s_waitcnt vmcnt(9)
	v_mul_f32_e32 v4, v21, v9
	s_waitcnt vmcnt(8)
	v_mul_f32_e32 v7, v22, v11
	v_fma_f32 v1, v3, v6, -v1
	v_mul_f32_e32 v3, v20, v9
	s_waitcnt vmcnt(7)
	v_mul_f32_e32 v9, v26, v13
	v_fmac_f32_e32 v0, v2, v6
	v_mul_f32_e32 v2, v23, v11
	v_fmac_f32_e32 v4, v20, v8
	v_mul_f32_e32 v6, v27, v13
	v_fma_f32 v5, v21, v8, -v3
	v_fma_f32 v3, v23, v10, -v7
	s_waitcnt vmcnt(6)
	v_mul_f32_e32 v8, v30, v15
	v_fma_f32 v7, v27, v12, -v9
	v_mul_f32_e32 v9, v29, v15
	v_fmac_f32_e32 v2, v22, v10
	s_waitcnt vmcnt(5)
	v_mul_f32_e32 v10, v32, v17
	v_mul_f32_e32 v11, v31, v17
	v_fmac_f32_e32 v6, v26, v12
	v_fmac_f32_e32 v8, v29, v14
	s_waitcnt vmcnt(4)
	v_mul_f32_e32 v12, v34, v19
	v_fma_f32 v9, v30, v14, -v9
	v_mul_f32_e32 v13, v33, v19
	s_waitcnt vmcnt(2)
	v_mul_f32_e32 v14, v38, v45
	v_mul_f32_e32 v15, v37, v45
	v_fmac_f32_e32 v10, v31, v16
	v_fma_f32 v11, v32, v16, -v11
	s_waitcnt vmcnt(0)
	v_mul_f32_e32 v16, v40, v25
	v_mul_f32_e32 v17, v39, v25
	v_fmac_f32_e32 v12, v33, v18
	v_fma_f32 v13, v34, v18, -v13
	v_fmac_f32_e32 v14, v37, v44
	v_fma_f32 v15, v38, v44, -v15
	;; [unrolled: 2-line block ×3, first 2 shown]
	ds_write2_b64 v48, v[0:1], v[4:5] offset0:36 offset1:72
	ds_write2_b64 v48, v[2:3], v[6:7] offset0:108 offset1:144
	ds_write2_b64 v48, v[8:9], v[10:11] offset0:180 offset1:216
	ds_write2_b64 v49, v[12:13], v[14:15] offset0:124 offset1:160
	ds_write_b64 v48, v[16:17] offset:2592
.LBB0_3:
	s_or_b32 exec_lo, exec_lo, s1
	s_load_dwordx2 s[2:3], s[4:5], 0x20
	s_waitcnt lgkmcnt(0)
	s_barrier
	buffer_gl0_inv
                                        ; implicit-def: $vgpr0
                                        ; implicit-def: $vgpr12
                                        ; implicit-def: $vgpr16
                                        ; implicit-def: $vgpr20
                                        ; implicit-def: $vgpr24
	s_and_saveexec_b32 s0, vcc_lo
	s_cbranch_execz .LBB0_5
; %bb.4:
	v_lshl_add_u32 v4, v28, 3, v42
	v_add_nc_u32_e32 v5, 0x800, v4
	ds_read2_b64 v[0:3], v4 offset1:36
	ds_read2_b64 v[12:15], v4 offset0:72 offset1:108
	ds_read2_b64 v[16:19], v4 offset0:144 offset1:180
	;; [unrolled: 1-line block ×4, first 2 shown]
.LBB0_5:
	s_or_b32 exec_lo, exec_lo, s0
	s_waitcnt lgkmcnt(1)
	v_add_f32_e32 v4, v16, v20
	s_waitcnt lgkmcnt(0)
	v_sub_f32_e32 v5, v13, v25
	v_add_f32_e32 v6, v12, v24
	v_sub_f32_e32 v7, v12, v16
	v_sub_f32_e32 v8, v24, v20
	v_fma_f32 v29, -0.5, v4, v0
	v_sub_f32_e32 v4, v17, v21
	v_fma_f32 v31, -0.5, v6, v0
	v_add_f32_e32 v6, v17, v21
	v_add_f32_e32 v7, v7, v8
	v_fmamk_f32 v30, v5, 0x3f737871, v29
	v_fmac_f32_e32 v29, 0xbf737871, v5
	v_fmamk_f32 v32, v4, 0xbf737871, v31
	v_fmac_f32_e32 v31, 0x3f737871, v4
	v_fma_f32 v33, -0.5, v6, v1
	v_fmac_f32_e32 v30, 0x3f167918, v4
	v_fmac_f32_e32 v29, 0xbf167918, v4
	;; [unrolled: 1-line block ×3, first 2 shown]
	v_sub_f32_e32 v6, v16, v12
	v_fmac_f32_e32 v31, 0xbf167918, v5
	v_fmac_f32_e32 v30, 0x3e9e377a, v7
	;; [unrolled: 1-line block ×3, first 2 shown]
	v_sub_f32_e32 v7, v20, v24
	v_add_f32_e32 v5, v13, v25
	v_sub_f32_e32 v4, v16, v20
	v_sub_f32_e32 v9, v13, v17
	;; [unrolled: 1-line block ×3, first 2 shown]
	v_add_f32_e32 v6, v6, v7
	v_fma_f32 v35, -0.5, v5, v1
	v_sub_f32_e32 v8, v12, v24
	v_sub_f32_e32 v11, v26, v22
	v_add_f32_e32 v7, v9, v10
	v_fmac_f32_e32 v32, 0x3e9e377a, v6
	v_fmac_f32_e32 v31, 0x3e9e377a, v6
	v_fmamk_f32 v37, v4, 0x3f737871, v35
	v_sub_f32_e32 v6, v17, v13
	v_sub_f32_e32 v9, v21, v25
	v_fmac_f32_e32 v35, 0xbf737871, v4
	v_sub_f32_e32 v10, v14, v18
	v_fmac_f32_e32 v37, 0xbf167918, v8
	v_fmamk_f32 v34, v8, 0xbf737871, v33
	v_add_f32_e32 v6, v6, v9
	v_fmac_f32_e32 v35, 0x3f167918, v8
	v_fmac_f32_e32 v33, 0x3f737871, v8
	v_add_f32_e32 v5, v18, v22
	v_sub_f32_e32 v38, v22, v26
	v_fmac_f32_e32 v37, 0x3e9e377a, v6
	v_fmac_f32_e32 v35, 0x3e9e377a, v6
	v_add_f32_e32 v6, v10, v11
	v_sub_f32_e32 v11, v18, v14
	v_fmac_f32_e32 v34, 0xbf167918, v4
	v_fmac_f32_e32 v33, 0x3f167918, v4
	v_fma_f32 v4, -0.5, v5, v2
	v_sub_f32_e32 v5, v15, v27
	v_add_f32_e32 v8, v14, v26
	v_add_f32_e32 v11, v11, v38
	;; [unrolled: 1-line block ×3, first 2 shown]
	v_fmac_f32_e32 v34, 0x3e9e377a, v7
	v_fmac_f32_e32 v33, 0x3e9e377a, v7
	v_fmamk_f32 v7, v5, 0x3f737871, v4
	v_sub_f32_e32 v9, v19, v23
	v_fma_f32 v8, -0.5, v8, v2
	v_fmac_f32_e32 v4, 0xbf737871, v5
	v_add_f32_e32 v39, v19, v23
	v_sub_f32_e32 v40, v18, v22
	v_fma_f32 v44, -0.5, v38, v3
	v_fmac_f32_e32 v7, 0x3f167918, v9
	v_fmamk_f32 v10, v9, 0xbf737871, v8
	v_fmac_f32_e32 v4, 0xbf167918, v9
	v_fmac_f32_e32 v8, 0x3f737871, v9
	v_fma_f32 v9, -0.5, v39, v3
	v_sub_f32_e32 v39, v14, v26
	v_fmamk_f32 v46, v40, 0x3f737871, v44
	v_sub_f32_e32 v45, v19, v15
	v_sub_f32_e32 v47, v23, v27
	v_fmac_f32_e32 v10, 0x3f167918, v5
	v_fmac_f32_e32 v8, 0xbf167918, v5
	v_fmamk_f32 v5, v39, 0xbf737871, v9
	v_sub_f32_e32 v38, v15, v19
	v_sub_f32_e32 v48, v27, v23
	v_fmac_f32_e32 v44, 0xbf737871, v40
	v_fmac_f32_e32 v46, 0xbf167918, v39
	v_add_f32_e32 v45, v45, v47
	v_fmac_f32_e32 v9, 0x3f737871, v39
	v_add_f32_e32 v47, v38, v48
	v_fmac_f32_e32 v44, 0x3f167918, v39
	s_load_dwordx2 s[0:1], s[4:5], 0x8
	v_fmac_f32_e32 v46, 0x3e9e377a, v45
	v_fmac_f32_e32 v9, 0x3f167918, v40
	;; [unrolled: 1-line block ×7, first 2 shown]
	v_mul_f32_e32 v39, 0x3f737871, v46
	v_fmac_f32_e32 v4, 0x3e9e377a, v6
	v_fmac_f32_e32 v9, 0x3e9e377a, v47
	;; [unrolled: 1-line block ×3, first 2 shown]
	v_mul_f32_e32 v38, 0x3f4f1bbd, v7
	v_mul_f32_e32 v11, 0x3e9e377a, v8
	v_fmac_f32_e32 v39, 0x3e9e377a, v10
	v_mul_f32_e32 v6, 0x3f4f1bbd, v4
	v_mul_f32_e32 v45, 0xbf167918, v7
	;; [unrolled: 1-line block ×5, first 2 shown]
	v_fmac_f32_e32 v38, 0x3f167918, v5
	v_fma_f32 v40, 0x3f737871, v44, -v11
	v_fma_f32 v44, 0x3f167918, v9, -v6
	v_fmac_f32_e32 v45, 0x3f4f1bbd, v5
	v_fmac_f32_e32 v47, 0x3e9e377a, v46
	v_fma_f32 v48, 0xbf737871, v8, -v7
	v_fma_f32 v49, 0xbf167918, v4, -v10
	v_sub_f32_e32 v8, v30, v38
	v_sub_f32_e32 v10, v32, v39
	;; [unrolled: 1-line block ×8, first 2 shown]
	v_mul_lo_u16 v46, v41, 10
	s_waitcnt lgkmcnt(0)
	s_barrier
	buffer_gl0_inv
	s_and_saveexec_b32 s4, vcc_lo
	s_cbranch_execz .LBB0_7
; %bb.6:
	v_add_f32_e32 v1, v1, v13
	v_add_f32_e32 v3, v3, v15
	;; [unrolled: 1-line block ×14, first 2 shown]
	v_and_b32_e32 v20, 0xffff, v46
	v_add_f32_e32 v12, v1, v25
	v_add_f32_e32 v14, v3, v27
	;; [unrolled: 1-line block ×5, first 2 shown]
	v_add_lshl_u32 v20, v28, v20, 3
	v_add_f32_e32 v17, v12, v14
	v_add_f32_e32 v13, v37, v47
	v_sub_f32_e32 v2, v0, v16
	v_add_f32_e32 v16, v0, v16
	v_sub_f32_e32 v3, v12, v14
	v_add_f32_e32 v14, v31, v40
	v_add_f32_e32 v12, v32, v39
	;; [unrolled: 1-line block ×4, first 2 shown]
	ds_write_b128 v20, v[16:19]
	ds_write_b128 v20, v[12:15] offset:16
	ds_write_b128 v20, v[0:3] offset:32
	;; [unrolled: 1-line block ×4, first 2 shown]
.LBB0_7:
	s_or_b32 exec_lo, exec_lo, s4
	v_and_b32_e32 v0, 0xff, v41
	s_load_dwordx4 s[4:7], s[2:3], 0x0
	s_waitcnt lgkmcnt(0)
	s_barrier
	buffer_gl0_inv
	v_mul_lo_u16 v0, 0xcd, v0
	v_add_lshl_u32 v45, v28, v41, 3
	v_mov_b32_e32 v31, 60
	v_lshrrev_b16 v29, 11, v0
	v_add_nc_u32_e32 v32, 0x400, v45
	v_mul_lo_u16 v0, v29, 10
	v_mul_u32_u24_sdwa v29, v29, v31 dst_sel:DWORD dst_unused:UNUSED_PAD src0_sel:WORD_0 src1_sel:DWORD
	v_sub_nc_u16 v0, v41, v0
	v_and_b32_e32 v30, 0xff, v0
	v_mad_u64_u32 v[16:17], null, v30, 40, s[0:1]
	v_add_nc_u32_e32 v31, v29, v30
	v_mad_u64_u32 v[29:30], null, v41, 40, s[0:1]
	s_clause 0x2
	global_load_dwordx4 v[12:15], v[16:17], off
	global_load_dwordx4 v[0:3], v[16:17], off offset:16
	global_load_dwordx2 v[37:38], v[16:17], off offset:32
	ds_read2_b64 v[16:19], v45 offset1:60
	ds_read2_b64 v[20:23], v45 offset0:120 offset1:180
	ds_read2_b64 v[24:27], v32 offset0:112 offset1:172
	v_add_lshl_u32 v47, v28, v31, 3
	s_waitcnt vmcnt(0) lgkmcnt(0)
	s_barrier
	buffer_gl0_inv
	v_mul_f32_e32 v28, v19, v13
	v_mul_f32_e32 v31, v18, v13
	;; [unrolled: 1-line block ×10, first 2 shown]
	v_fma_f32 v28, v18, v12, -v28
	v_fmac_f32_e32 v31, v19, v12
	v_fma_f32 v18, v20, v14, -v33
	v_fmac_f32_e32 v34, v21, v14
	;; [unrolled: 2-line block ×5, first 2 shown]
	v_add_f32_e32 v25, v17, v34
	v_add_f32_e32 v23, v18, v20
	v_sub_f32_e32 v24, v34, v44
	v_add_f32_e32 v26, v34, v44
	v_add_f32_e32 v33, v19, v21
	v_sub_f32_e32 v34, v39, v49
	v_add_f32_e32 v35, v31, v39
	v_add_f32_e32 v39, v39, v49
	;; [unrolled: 1-line block ×4, first 2 shown]
	v_sub_f32_e32 v19, v19, v21
	v_fma_f32 v40, -0.5, v23, v16
	v_fmac_f32_e32 v28, -0.5, v33
	v_fmac_f32_e32 v31, -0.5, v39
	v_sub_f32_e32 v18, v18, v20
	v_add_f32_e32 v20, v22, v20
	v_add_f32_e32 v22, v25, v44
	v_fma_f32 v44, -0.5, v26, v17
	v_fmamk_f32 v25, v24, 0x3f5db3d7, v40
	v_fmac_f32_e32 v40, 0xbf5db3d7, v24
	v_fmamk_f32 v24, v34, 0x3f5db3d7, v28
	v_fmamk_f32 v26, v19, 0xbf5db3d7, v31
	v_fmac_f32_e32 v28, 0xbf5db3d7, v34
	v_fmac_f32_e32 v31, 0x3f5db3d7, v19
	v_add_f32_e32 v23, v35, v49
	v_mul_f32_e32 v35, 0xbf5db3d7, v24
	v_mul_f32_e32 v33, 0x3f5db3d7, v26
	v_mul_f32_e32 v34, -0.5, v28
	v_mul_f32_e32 v39, -0.5, v31
	v_add_f32_e32 v21, v27, v21
	v_fmamk_f32 v27, v18, 0xbf5db3d7, v44
	v_fmac_f32_e32 v33, 0.5, v24
	v_fmac_f32_e32 v35, 0.5, v26
	v_fmac_f32_e32 v44, 0x3f5db3d7, v18
	v_fmac_f32_e32 v34, 0x3f5db3d7, v31
	;; [unrolled: 1-line block ×3, first 2 shown]
	v_add_f32_e32 v16, v20, v21
	v_add_f32_e32 v17, v22, v23
	v_sub_f32_e32 v18, v20, v21
	v_add_f32_e32 v20, v25, v33
	v_add_f32_e32 v21, v27, v35
	v_sub_f32_e32 v19, v22, v23
	;; [unrolled: 3-line block ×3, first 2 shown]
	v_sub_f32_e32 v26, v40, v34
	v_sub_f32_e32 v25, v27, v35
	;; [unrolled: 1-line block ×3, first 2 shown]
	ds_write2_b64 v47, v[16:17], v[20:21] offset1:10
	ds_write2_b64 v47, v[22:23], v[18:19] offset0:20 offset1:30
	ds_write2_b64 v47, v[24:25], v[26:27] offset0:40 offset1:50
	s_waitcnt lgkmcnt(0)
	s_barrier
	buffer_gl0_inv
	s_clause 0x2
	global_load_dwordx4 v[20:23], v[29:30], off offset:400
	global_load_dwordx4 v[16:19], v[29:30], off offset:416
	global_load_dwordx2 v[39:40], v[29:30], off offset:432
	ds_read2_b64 v[24:27], v45 offset1:60
	ds_read2_b64 v[28:31], v45 offset0:120 offset1:180
	ds_read2_b64 v[32:35], v32 offset0:112 offset1:172
	v_lshl_add_u32 v44, v41, 3, v43
	v_add_nc_u32_e32 v48, 0x400, v44
	s_waitcnt vmcnt(2) lgkmcnt(2)
	v_mul_f32_e32 v50, v26, v21
	s_waitcnt lgkmcnt(1)
	v_mul_f32_e32 v51, v29, v23
	v_mul_f32_e32 v52, v28, v23
	s_waitcnt vmcnt(1)
	v_mul_f32_e32 v53, v31, v17
	v_mul_f32_e32 v54, v30, v17
	s_waitcnt lgkmcnt(0)
	v_mul_f32_e32 v55, v33, v19
	v_mul_f32_e32 v56, v32, v19
	s_waitcnt vmcnt(0)
	v_mul_f32_e32 v57, v35, v40
	v_mul_f32_e32 v58, v34, v40
	;; [unrolled: 1-line block ×3, first 2 shown]
	v_fmac_f32_e32 v50, v27, v20
	v_fma_f32 v27, v28, v22, -v51
	v_fmac_f32_e32 v52, v29, v22
	v_fma_f32 v28, v30, v16, -v53
	;; [unrolled: 2-line block ×5, first 2 shown]
	v_add_f32_e32 v32, v27, v29
	v_sub_f32_e32 v33, v52, v56
	v_add_f32_e32 v34, v25, v52
	v_add_f32_e32 v35, v52, v56
	;; [unrolled: 1-line block ×3, first 2 shown]
	v_sub_f32_e32 v52, v54, v58
	v_add_f32_e32 v53, v50, v54
	v_add_f32_e32 v54, v54, v58
	;; [unrolled: 1-line block ×3, first 2 shown]
	v_sub_f32_e32 v27, v27, v29
	v_add_f32_e32 v49, v26, v28
	v_sub_f32_e32 v28, v28, v30
	v_fma_f32 v55, -0.5, v32, v24
	v_fma_f32 v35, -0.5, v35, v25
	v_fmac_f32_e32 v26, -0.5, v51
	v_fmac_f32_e32 v50, -0.5, v54
	v_add_f32_e32 v29, v31, v29
	v_add_f32_e32 v31, v34, v56
	;; [unrolled: 1-line block ×3, first 2 shown]
	v_fmamk_f32 v34, v33, 0x3f5db3d7, v55
	v_fmac_f32_e32 v55, 0xbf5db3d7, v33
	v_fmamk_f32 v33, v27, 0xbf5db3d7, v35
	v_fmac_f32_e32 v35, 0x3f5db3d7, v27
	v_fmamk_f32 v27, v52, 0x3f5db3d7, v26
	v_fmamk_f32 v49, v28, 0xbf5db3d7, v50
	v_fmac_f32_e32 v26, 0xbf5db3d7, v52
	v_fmac_f32_e32 v50, 0x3f5db3d7, v28
	v_add_f32_e32 v32, v53, v58
	v_mul_f32_e32 v53, 0xbf5db3d7, v27
	v_mul_f32_e32 v51, 0x3f5db3d7, v49
	v_mul_f32_e32 v52, -0.5, v26
	v_mul_f32_e32 v54, -0.5, v50
	v_add_f32_e32 v24, v29, v30
	v_fmac_f32_e32 v53, 0.5, v49
	v_fmac_f32_e32 v51, 0.5, v27
	v_fmac_f32_e32 v52, 0x3f5db3d7, v50
	v_fmac_f32_e32 v54, 0xbf5db3d7, v26
	v_add_f32_e32 v25, v31, v32
	v_sub_f32_e32 v30, v29, v30
	v_sub_f32_e32 v31, v31, v32
	v_add_f32_e32 v26, v34, v51
	v_add_f32_e32 v28, v55, v52
	v_add_f32_e32 v27, v33, v53
	v_add_f32_e32 v29, v35, v54
	v_sub_f32_e32 v32, v34, v51
	v_sub_f32_e32 v34, v55, v52
	;; [unrolled: 1-line block ×4, first 2 shown]
	ds_write2_b64 v44, v[24:25], v[26:27] offset1:60
	ds_write2_b64 v44, v[28:29], v[30:31] offset0:120 offset1:180
	ds_write2_b64 v48, v[32:33], v[34:35] offset0:112 offset1:172
	s_waitcnt lgkmcnt(0)
	s_barrier
	buffer_gl0_inv
	s_and_saveexec_b32 s1, vcc_lo
	s_cbranch_execz .LBB0_9
; %bb.8:
	v_add_co_u32 v52, s0, s14, v42
	v_add_co_ci_u32_e64 v53, null, s15, 0, s0
	v_add_nc_u32_e32 v89, 0x800, v44
	v_add_co_u32 v48, s0, 0x800, v52
	v_add_co_ci_u32_e64 v49, s0, 0, v53, s0
	v_add_co_u32 v50, s0, 0xb40, v52
	v_add_co_ci_u32_e64 v51, s0, 0, v53, s0
	s_clause 0x5
	global_load_dwordx2 v[68:69], v[48:49], off offset:832
	global_load_dwordx2 v[70:71], v[50:51], off offset:288
	;; [unrolled: 1-line block ×6, first 2 shown]
	v_add_co_u32 v48, s0, 0x1000, v52
	v_add_co_ci_u32_e64 v49, s0, 0, v53, s0
	s_clause 0x3
	global_load_dwordx2 v[80:81], v[50:51], off offset:1728
	global_load_dwordx2 v[82:83], v[50:51], off offset:2016
	;; [unrolled: 1-line block ×4, first 2 shown]
	ds_read2_b64 v[48:51], v44 offset1:36
	ds_read2_b64 v[52:55], v44 offset0:72 offset1:108
	ds_read2_b64 v[56:59], v44 offset0:144 offset1:180
	;; [unrolled: 1-line block ×4, first 2 shown]
	s_waitcnt vmcnt(9) lgkmcnt(4)
	v_mul_f32_e32 v90, v49, v69
	v_mul_f32_e32 v88, v48, v69
	s_waitcnt vmcnt(8)
	v_mul_f32_e32 v91, v51, v71
	v_mul_f32_e32 v69, v50, v71
	s_waitcnt vmcnt(7) lgkmcnt(3)
	v_mul_f32_e32 v92, v53, v73
	v_mul_f32_e32 v71, v52, v73
	s_waitcnt vmcnt(6)
	v_mul_f32_e32 v93, v55, v75
	v_mul_f32_e32 v73, v54, v75
	;; [unrolled: 6-line block ×5, first 2 shown]
	v_fma_f32 v87, v48, v68, -v90
	v_fmac_f32_e32 v88, v49, v68
	v_fma_f32 v68, v50, v70, -v91
	v_fmac_f32_e32 v69, v51, v70
	v_fma_f32 v70, v52, v72, -v92
	v_fmac_f32_e32 v71, v53, v72
	v_fma_f32 v72, v54, v74, -v93
	v_fmac_f32_e32 v73, v55, v74
	v_fma_f32 v74, v56, v76, -v94
	v_fmac_f32_e32 v75, v57, v76
	v_fma_f32 v76, v58, v78, -v95
	v_fmac_f32_e32 v77, v59, v78
	v_fma_f32 v78, v60, v80, -v96
	v_fmac_f32_e32 v79, v61, v80
	v_fma_f32 v80, v62, v82, -v97
	v_fmac_f32_e32 v81, v63, v82
	v_fma_f32 v82, v64, v84, -v98
	v_fmac_f32_e32 v83, v65, v84
	v_fma_f32 v84, v66, v86, -v99
	v_fmac_f32_e32 v85, v67, v86
	ds_write2_b64 v44, v[87:88], v[68:69] offset1:36
	ds_write2_b64 v44, v[70:71], v[72:73] offset0:72 offset1:108
	ds_write2_b64 v44, v[74:75], v[76:77] offset0:144 offset1:180
	ds_write2_b64 v44, v[78:79], v[80:81] offset0:216 offset1:252
	ds_write2_b64 v89, v[82:83], v[84:85] offset0:32 offset1:68
.LBB0_9:
	s_or_b32 exec_lo, exec_lo, s1
	s_waitcnt lgkmcnt(0)
	s_barrier
	buffer_gl0_inv
	s_and_saveexec_b32 s0, vcc_lo
	s_cbranch_execz .LBB0_11
; %bb.10:
	v_add_nc_u32_e32 v4, 0x800, v44
	ds_read2_b64 v[24:27], v44 offset1:36
	ds_read2_b64 v[28:31], v44 offset0:72 offset1:108
	ds_read2_b64 v[32:35], v44 offset0:144 offset1:180
	;; [unrolled: 1-line block ×4, first 2 shown]
.LBB0_11:
	s_or_b32 exec_lo, exec_lo, s0
	s_waitcnt lgkmcnt(0)
	s_barrier
	buffer_gl0_inv
	s_and_saveexec_b32 s0, vcc_lo
	s_cbranch_execz .LBB0_13
; %bb.12:
	v_add_f32_e32 v48, v33, v9
	v_sub_f32_e32 v49, v29, v33
	v_sub_f32_e32 v50, v5, v9
	;; [unrolled: 1-line block ×3, first 2 shown]
	v_add_f32_e32 v51, v35, v11
	v_fma_f32 v48, -0.5, v48, v25
	v_sub_f32_e32 v65, v32, v8
	v_add_f32_e32 v50, v49, v50
	v_add_f32_e32 v49, v29, v5
	v_sub_f32_e32 v66, v33, v29
	v_fmamk_f32 v64, v53, 0xbf737871, v48
	v_sub_f32_e32 v67, v9, v5
	v_add_f32_e32 v68, v31, v7
	v_fma_f32 v69, -0.5, v49, v25
	v_fmac_f32_e32 v48, 0x3f737871, v53
	v_add_f32_e32 v25, v25, v29
	v_add_f32_e32 v52, v34, v10
	v_fma_f32 v56, -0.5, v51, v27
	v_fmac_f32_e32 v64, 0xbf167918, v65
	v_add_f32_e32 v49, v30, v6
	;; [unrolled: 4-line block ×3, first 2 shown]
	v_add_f32_e32 v25, v25, v33
	v_sub_f32_e32 v55, v30, v6
	v_fma_f32 v52, -0.5, v52, v26
	v_sub_f32_e32 v57, v31, v7
	v_sub_f32_e32 v51, v31, v35
	;; [unrolled: 1-line block ×3, first 2 shown]
	v_fmac_f32_e32 v64, 0x3e9e377a, v50
	v_fmamk_f32 v68, v65, 0x3f737871, v69
	v_fma_f32 v70, -0.5, v49, v26
	v_sub_f32_e32 v49, v35, v31
	v_fmac_f32_e32 v69, 0xbf737871, v65
	v_fmac_f32_e32 v48, 0x3e9e377a, v50
	v_add_f32_e32 v27, v27, v35
	v_sub_f32_e32 v35, v28, v32
	v_sub_f32_e32 v50, v4, v8
	;; [unrolled: 1-line block ×3, first 2 shown]
	v_add_f32_e32 v9, v25, v9
	v_add_f32_e32 v25, v28, v4
	v_sub_f32_e32 v60, v34, v10
	v_sub_f32_e32 v54, v30, v34
	v_sub_f32_e32 v58, v7, v11
	v_fmamk_f32 v59, v55, 0xbf737871, v56
	v_sub_f32_e32 v61, v6, v10
	v_fmamk_f32 v62, v57, 0x3f737871, v52
	v_sub_f32_e32 v71, v11, v7
	v_fmac_f32_e32 v68, 0xbf167918, v53
	v_fmac_f32_e32 v52, 0xbf737871, v57
	;; [unrolled: 1-line block ×4, first 2 shown]
	v_add_f32_e32 v53, v32, v8
	v_sub_f32_e32 v29, v29, v5
	v_add_f32_e32 v11, v27, v11
	v_add_f32_e32 v27, v35, v50
	v_add_f32_e32 v35, v9, v5
	v_fma_f32 v65, -0.5, v25, v24
	v_sub_f32_e32 v5, v32, v28
	v_sub_f32_e32 v9, v8, v4
	v_fmamk_f32 v72, v60, 0x3f737871, v67
	v_fmac_f32_e32 v67, 0xbf737871, v60
	v_add_f32_e32 v58, v51, v58
	v_fmac_f32_e32 v59, 0xbf167918, v60
	v_add_f32_e32 v54, v54, v61
	v_fmac_f32_e32 v62, 0x3f167918, v63
	v_fmamk_f32 v75, v63, 0xbf737871, v70
	v_fmac_f32_e32 v68, 0x3e9e377a, v66
	v_fmac_f32_e32 v70, 0x3f737871, v63
	;; [unrolled: 1-line block ×5, first 2 shown]
	v_fma_f32 v31, -0.5, v53, v24
	v_add_f32_e32 v63, v11, v7
	v_fmamk_f32 v66, v33, 0xbf737871, v65
	v_add_f32_e32 v5, v5, v9
	v_fmac_f32_e32 v65, 0x3f737871, v33
	v_add_f32_e32 v9, v24, v28
	v_add_f32_e32 v11, v26, v30
	v_sub_f32_e32 v73, v34, v30
	v_sub_f32_e32 v74, v10, v6
	v_add_f32_e32 v49, v49, v71
	v_fmac_f32_e32 v72, 0xbf167918, v55
	v_fmac_f32_e32 v67, 0x3f167918, v55
	v_fmac_f32_e32 v59, 0x3e9e377a, v58
	v_fmac_f32_e32 v52, 0x3e9e377a, v54
	v_fmac_f32_e32 v56, 0x3e9e377a, v58
	v_fmamk_f32 v58, v29, 0x3f737871, v31
	v_fmac_f32_e32 v66, 0x3f167918, v29
	v_fmac_f32_e32 v65, 0xbf167918, v29
	v_add_f32_e32 v9, v9, v32
	v_add_f32_e32 v11, v11, v34
	v_fmac_f32_e32 v31, 0xbf737871, v29
	v_add_f32_e32 v71, v73, v74
	v_fmac_f32_e32 v75, 0x3f167918, v57
	v_fmac_f32_e32 v72, 0x3e9e377a, v49
	;; [unrolled: 1-line block ×4, first 2 shown]
	v_mul_f32_e32 v60, 0x3f167918, v52
	v_fmac_f32_e32 v66, 0x3e9e377a, v5
	v_fmac_f32_e32 v65, 0x3e9e377a, v5
	v_add_f32_e32 v5, v9, v8
	v_add_f32_e32 v8, v11, v10
	v_fmac_f32_e32 v31, 0xbf167918, v33
	v_mul_f32_e32 v29, 0xbf167918, v56
	v_fmac_f32_e32 v75, 0x3e9e377a, v71
	v_mul_f32_e32 v73, 0xbe9e377a, v72
	;; [unrolled: 2-line block ×3, first 2 shown]
	v_mul_f32_e32 v28, 0xbf737871, v72
	v_mul_f32_e32 v30, 0xbf737871, v67
	v_fmac_f32_e32 v62, 0x3e9e377a, v54
	v_mul_f32_e32 v61, 0xbf4f1bbd, v59
	v_fmac_f32_e32 v58, 0x3f167918, v33
	;; [unrolled: 2-line block ×3, first 2 shown]
	v_add_f32_e32 v4, v5, v4
	v_add_f32_e32 v8, v8, v6
	v_fmac_f32_e32 v31, 0x3e9e377a, v27
	v_fmac_f32_e32 v29, 0x3f4f1bbd, v52
	v_and_b32_e32 v32, 0xffff, v46
	v_fmac_f32_e32 v73, 0x3f737871, v75
	v_fmac_f32_e32 v57, 0x3f737871, v70
	;; [unrolled: 1-line block ×7, first 2 shown]
	v_add_f32_e32 v27, v48, v60
	v_add_f32_e32 v25, v35, v63
	;; [unrolled: 1-line block ×4, first 2 shown]
	v_lshl_add_u32 v32, v32, 3, v43
	v_sub_f32_e32 v6, v4, v8
	v_add_f32_e32 v11, v68, v73
	v_add_f32_e32 v9, v69, v57
	;; [unrolled: 1-line block ×4, first 2 shown]
	v_sub_f32_e32 v7, v35, v63
	v_add_f32_e32 v5, v64, v61
	v_add_f32_e32 v4, v58, v59
	v_sub_f32_e32 v55, v69, v57
	v_sub_f32_e32 v53, v48, v60
	;; [unrolled: 1-line block ×8, first 2 shown]
	ds_write_b128 v32, v[24:27]
	ds_write_b128 v32, v[8:11] offset:16
	ds_write_b128 v32, v[4:7] offset:32
	;; [unrolled: 1-line block ×4, first 2 shown]
.LBB0_13:
	s_or_b32 exec_lo, exec_lo, s0
	s_waitcnt lgkmcnt(0)
	s_barrier
	buffer_gl0_inv
	ds_read2_b64 v[4:7], v45 offset1:60
	ds_read2_b64 v[8:11], v45 offset0:120 offset1:180
	v_add_nc_u32_e32 v28, 0x400, v45
	ds_read2_b64 v[24:27], v28 offset0:112 offset1:172
	s_waitcnt lgkmcnt(0)
	s_barrier
	buffer_gl0_inv
	v_mul_f32_e32 v29, v13, v7
	v_mul_f32_e32 v13, v13, v6
	v_mul_f32_e32 v30, v15, v9
	v_mul_f32_e32 v15, v15, v8
	v_mul_f32_e32 v31, v1, v11
	v_mul_f32_e32 v1, v1, v10
	v_fmac_f32_e32 v29, v12, v6
	v_fma_f32 v6, v12, v7, -v13
	v_fmac_f32_e32 v30, v14, v8
	v_fma_f32 v7, v14, v9, -v15
	v_fmac_f32_e32 v31, v0, v10
	v_mul_f32_e32 v8, v3, v25
	v_mul_f32_e32 v3, v3, v24
	v_fma_f32 v0, v0, v11, -v1
	v_mul_f32_e32 v1, v38, v26
	v_mul_f32_e32 v9, v38, v27
	v_fmac_f32_e32 v8, v2, v24
	v_fma_f32 v2, v2, v25, -v3
	v_add_f32_e32 v3, v4, v30
	v_fma_f32 v1, v37, v27, -v1
	v_add_f32_e32 v10, v5, v7
	v_fmac_f32_e32 v9, v37, v26
	v_sub_f32_e32 v14, v7, v2
	v_add_f32_e32 v13, v3, v8
	v_add_f32_e32 v3, v30, v8
	;; [unrolled: 1-line block ×4, first 2 shown]
	v_sub_f32_e32 v7, v30, v8
	v_add_f32_e32 v8, v0, v1
	v_add_f32_e32 v12, v6, v0
	v_fma_f32 v10, -0.5, v3, v4
	v_add_f32_e32 v3, v31, v9
	v_fma_f32 v24, -0.5, v2, v5
	v_sub_f32_e32 v2, v31, v9
	v_fmac_f32_e32 v6, -0.5, v8
	v_add_f32_e32 v11, v29, v31
	v_fmac_f32_e32 v29, -0.5, v3
	v_sub_f32_e32 v0, v0, v1
	v_fmamk_f32 v8, v14, 0xbf5db3d7, v10
	v_fmamk_f32 v3, v2, 0x3f5db3d7, v6
	v_fmac_f32_e32 v6, 0xbf5db3d7, v2
	v_fmac_f32_e32 v10, 0x3f5db3d7, v14
	v_fmamk_f32 v14, v7, 0x3f5db3d7, v24
	v_fmac_f32_e32 v24, 0xbf5db3d7, v7
	v_add_f32_e32 v7, v11, v9
	v_fmamk_f32 v2, v0, 0xbf5db3d7, v29
	v_mul_f32_e32 v9, 0xbf5db3d7, v3
	v_mul_f32_e32 v25, 0.5, v3
	v_fmac_f32_e32 v29, 0x3f5db3d7, v0
	v_mul_f32_e32 v11, 0xbf5db3d7, v6
	v_mul_f32_e32 v26, -0.5, v6
	v_add_f32_e32 v12, v12, v1
	v_fmac_f32_e32 v9, 0.5, v2
	v_fmac_f32_e32 v25, 0x3f5db3d7, v2
	v_fmac_f32_e32 v11, -0.5, v29
	v_fmac_f32_e32 v26, 0x3f5db3d7, v29
	v_add_f32_e32 v0, v13, v7
	v_add_f32_e32 v2, v8, v9
	;; [unrolled: 1-line block ×6, first 2 shown]
	v_sub_f32_e32 v6, v13, v7
	v_sub_f32_e32 v7, v15, v12
	;; [unrolled: 1-line block ×6, first 2 shown]
	ds_write2_b64 v47, v[0:1], v[2:3] offset1:10
	ds_write2_b64 v47, v[4:5], v[6:7] offset0:20 offset1:30
	ds_write2_b64 v47, v[8:9], v[10:11] offset0:40 offset1:50
	s_waitcnt lgkmcnt(0)
	s_barrier
	buffer_gl0_inv
	ds_read2_b64 v[0:3], v45 offset1:60
	ds_read2_b64 v[4:7], v45 offset0:120 offset1:180
	ds_read2_b64 v[8:11], v28 offset0:112 offset1:172
	s_waitcnt lgkmcnt(2)
	v_mul_f32_e32 v12, v21, v3
	v_mul_f32_e32 v13, v21, v2
	s_waitcnt lgkmcnt(1)
	v_mul_f32_e32 v14, v23, v5
	v_fmac_f32_e32 v12, v20, v2
	v_mul_f32_e32 v2, v23, v4
	v_fma_f32 v3, v20, v3, -v13
	v_mul_f32_e32 v13, v17, v7
	v_fmac_f32_e32 v14, v22, v4
	s_waitcnt lgkmcnt(0)
	v_mul_f32_e32 v4, v19, v9
	v_fma_f32 v2, v22, v5, -v2
	v_mul_f32_e32 v5, v17, v6
	v_fmac_f32_e32 v13, v16, v6
	v_mul_f32_e32 v6, v19, v8
	v_fmac_f32_e32 v4, v18, v8
	v_mul_f32_e32 v8, v40, v11
	v_fma_f32 v5, v16, v7, -v5
	v_mul_f32_e32 v7, v40, v10
	v_fma_f32 v6, v18, v9, -v6
	v_add_f32_e32 v9, v14, v4
	v_fmac_f32_e32 v8, v39, v10
	v_add_f32_e32 v10, v0, v14
	v_fma_f32 v7, v39, v11, -v7
	v_add_f32_e32 v11, v2, v6
	v_fma_f32 v0, -0.5, v9, v0
	v_sub_f32_e32 v9, v2, v6
	v_add_f32_e32 v10, v10, v4
	v_add_f32_e32 v2, v1, v2
	v_fma_f32 v15, -0.5, v11, v1
	v_sub_f32_e32 v1, v14, v4
	v_add_f32_e32 v4, v5, v7
	v_fmamk_f32 v11, v9, 0xbf5db3d7, v0
	v_add_f32_e32 v14, v2, v6
	v_add_f32_e32 v2, v13, v8
	;; [unrolled: 1-line block ×3, first 2 shown]
	v_fmac_f32_e32 v3, -0.5, v4
	v_sub_f32_e32 v4, v13, v8
	v_fmac_f32_e32 v0, 0x3f5db3d7, v9
	v_fmamk_f32 v16, v1, 0x3f5db3d7, v15
	v_add_f32_e32 v9, v12, v13
	v_fmac_f32_e32 v12, -0.5, v2
	v_sub_f32_e32 v2, v5, v7
	v_fmac_f32_e32 v15, 0xbf5db3d7, v1
	v_fmamk_f32 v1, v4, 0x3f5db3d7, v3
	v_fmac_f32_e32 v3, 0xbf5db3d7, v4
	v_add_f32_e32 v8, v9, v8
	v_fmamk_f32 v4, v2, 0xbf5db3d7, v12
	v_fmac_f32_e32 v12, 0x3f5db3d7, v2
	v_mul_f32_e32 v9, 0xbf5db3d7, v1
	v_mul_f32_e32 v13, 0xbf5db3d7, v3
	v_mul_f32_e32 v18, 0.5, v1
	v_mul_f32_e32 v19, -0.5, v3
	v_add_f32_e32 v17, v6, v7
	v_fmac_f32_e32 v9, 0.5, v4
	v_fmac_f32_e32 v13, -0.5, v12
	v_fmac_f32_e32 v18, 0x3f5db3d7, v4
	v_fmac_f32_e32 v19, 0x3f5db3d7, v12
	v_add_f32_e32 v1, v10, v8
	v_add_f32_e32 v3, v11, v9
	;; [unrolled: 1-line block ×5, first 2 shown]
	v_sub_f32_e32 v9, v11, v9
	v_sub_f32_e32 v11, v0, v13
	v_add_nc_u32_e32 v0, 0x400, v44
	v_add_f32_e32 v6, v15, v19
	v_sub_f32_e32 v7, v10, v8
	v_sub_f32_e32 v8, v14, v17
	;; [unrolled: 1-line block ×4, first 2 shown]
	ds_write2_b64 v44, v[1:2], v[3:4] offset1:60
	ds_write2_b64 v44, v[5:6], v[7:8] offset0:120 offset1:180
	ds_write2_b64 v0, v[9:10], v[11:12] offset0:112 offset1:172
	s_waitcnt lgkmcnt(0)
	s_barrier
	buffer_gl0_inv
	s_and_b32 exec_lo, exec_lo, vcc_lo
	s_cbranch_execz .LBB0_15
; %bb.14:
	v_add_co_u32 v1, s0, s14, v42
	v_add_co_ci_u32_e64 v2, null, s15, 0, s0
	s_clause 0x7
	global_load_dwordx2 v[17:18], v42, s[14:15]
	global_load_dwordx2 v[19:20], v42, s[14:15] offset:288
	global_load_dwordx2 v[21:22], v42, s[14:15] offset:576
	;; [unrolled: 1-line block ×7, first 2 shown]
	v_add_co_u32 v1, vcc_lo, 0x800, v1
	v_add_co_ci_u32_e32 v2, vcc_lo, 0, v2, vcc_lo
	v_mad_u64_u32 v[5:6], null, s6, v36, 0
	v_mad_u64_u32 v[7:8], null, s4, v41, 0
	s_clause 0x1
	global_load_dwordx2 v[33:34], v[1:2], off offset:256
	global_load_dwordx2 v[37:38], v[1:2], off offset:544
	ds_read2_b64 v[13:16], v0 offset0:124 offset1:160
	s_mov_b32 s0, 0x16c16c17
	s_mov_b32 s1, 0x3f66c16c
	v_mov_b32_e32 v1, v6
	s_mul_i32 s2, s5, 0x120
	v_mov_b32_e32 v2, v8
	s_mul_hi_u32 s3, s4, 0x120
	s_mulk_i32 s4, 0x120
	s_add_i32 s3, s3, s2
	v_mad_u64_u32 v[3:4], null, s7, v36, v[1:2]
	ds_read_b64 v[35:36], v44
	v_mov_b32_e32 v6, v3
	v_mad_u64_u32 v[8:9], null, s5, v41, v[2:3]
	ds_read2_b64 v[1:4], v44 offset0:36 offset1:72
	v_lshlrev_b64 v[5:6], 3, v[5:6]
	v_lshlrev_b64 v[9:10], 3, v[7:8]
	v_add_co_u32 v11, vcc_lo, s12, v5
	v_add_co_ci_u32_e32 v12, vcc_lo, s13, v6, vcc_lo
	ds_read2_b64 v[5:8], v44 offset0:108 offset1:144
	v_add_co_u32 v39, vcc_lo, v11, v9
	v_add_co_ci_u32_e32 v40, vcc_lo, v12, v10, vcc_lo
	ds_read2_b64 v[9:12], v44 offset0:180 offset1:216
	ds_read_b64 v[43:44], v44 offset:2592
	v_add_co_u32 v41, vcc_lo, v39, s4
	v_add_co_ci_u32_e32 v42, vcc_lo, s3, v40, vcc_lo
	v_add_co_u32 v45, vcc_lo, v41, s4
	v_add_co_ci_u32_e32 v46, vcc_lo, s3, v42, vcc_lo
	;; [unrolled: 2-line block ×4, first 2 shown]
	s_waitcnt vmcnt(9) lgkmcnt(4)
	v_mul_f32_e32 v0, v36, v18
	s_waitcnt vmcnt(8) lgkmcnt(3)
	v_mul_f32_e32 v51, v2, v20
	v_mul_f32_e32 v18, v35, v18
	;; [unrolled: 1-line block ×3, first 2 shown]
	s_waitcnt vmcnt(7)
	v_mul_f32_e32 v52, v4, v22
	v_mul_f32_e32 v22, v3, v22
	s_waitcnt vmcnt(6) lgkmcnt(2)
	v_mul_f32_e32 v53, v6, v24
	v_mul_f32_e32 v24, v5, v24
	s_waitcnt vmcnt(5)
	v_mul_f32_e32 v54, v8, v26
	v_mul_f32_e32 v26, v7, v26
	v_fmac_f32_e32 v51, v1, v19
	s_waitcnt vmcnt(4) lgkmcnt(1)
	v_mul_f32_e32 v55, v10, v28
	v_mul_f32_e32 v28, v9, v28
	v_fmac_f32_e32 v0, v35, v17
	v_fma_f32 v17, v17, v36, -v18
	s_waitcnt vmcnt(3)
	v_mul_f32_e32 v56, v12, v30
	v_mul_f32_e32 v30, v11, v30
	v_fma_f32 v18, v19, v2, -v20
	s_waitcnt vmcnt(2)
	v_mul_f32_e32 v57, v14, v32
	v_mul_f32_e32 v32, v13, v32
	v_fmac_f32_e32 v52, v3, v21
	v_fma_f32 v19, v21, v4, -v22
	v_fmac_f32_e32 v53, v5, v23
	v_fma_f32 v20, v23, v6, -v24
	s_waitcnt vmcnt(1)
	v_mul_f32_e32 v35, v16, v34
	v_mul_f32_e32 v34, v15, v34
	v_fmac_f32_e32 v54, v7, v25
	v_fma_f32 v21, v25, v8, -v26
	v_cvt_f64_f32_e32 v[4:5], v51
	s_waitcnt vmcnt(0) lgkmcnt(0)
	v_mul_f32_e32 v51, v44, v38
	v_mul_f32_e32 v36, v43, v38
	v_fmac_f32_e32 v55, v9, v27
	v_fma_f32 v25, v27, v10, -v28
	v_cvt_f64_f32_e32 v[0:1], v0
	v_cvt_f64_f32_e32 v[2:3], v17
	v_fmac_f32_e32 v56, v11, v29
	v_fma_f32 v29, v29, v12, -v30
	v_cvt_f64_f32_e32 v[6:7], v18
	v_fmac_f32_e32 v57, v13, v31
	v_fma_f32 v14, v31, v14, -v32
	v_cvt_f64_f32_e32 v[8:9], v52
	v_cvt_f64_f32_e32 v[10:11], v19
	;; [unrolled: 1-line block ×4, first 2 shown]
	v_fmac_f32_e32 v35, v15, v33
	v_fma_f32 v16, v33, v16, -v34
	v_cvt_f64_f32_e32 v[19:20], v54
	v_cvt_f64_f32_e32 v[21:22], v21
	v_fmac_f32_e32 v51, v43, v37
	v_fma_f32 v43, v37, v44, -v36
	v_cvt_f64_f32_e32 v[23:24], v55
	v_cvt_f64_f32_e32 v[25:26], v25
	;; [unrolled: 1-line block ×10, first 2 shown]
	v_mul_f64 v[0:1], v[0:1], s[0:1]
	v_mul_f64 v[2:3], v[2:3], s[0:1]
	;; [unrolled: 1-line block ×10, first 2 shown]
	v_add_co_u32 v51, vcc_lo, v49, s4
	v_mul_f64 v[22:23], v[23:24], s[0:1]
	v_mul_f64 v[24:25], v[25:26], s[0:1]
	;; [unrolled: 1-line block ×10, first 2 shown]
	v_cvt_f32_f64_e32 v0, v[0:1]
	v_cvt_f32_f64_e32 v1, v[2:3]
	;; [unrolled: 1-line block ×4, first 2 shown]
	v_add_co_ci_u32_e32 v52, vcc_lo, s3, v50, vcc_lo
	v_cvt_f32_f64_e32 v4, v[8:9]
	v_cvt_f32_f64_e32 v5, v[10:11]
	;; [unrolled: 1-line block ×6, first 2 shown]
	v_add_co_u32 v53, vcc_lo, v51, s4
	v_cvt_f32_f64_e32 v10, v[22:23]
	v_cvt_f32_f64_e32 v11, v[24:25]
	;; [unrolled: 1-line block ×4, first 2 shown]
	v_add_co_ci_u32_e32 v54, vcc_lo, s3, v52, vcc_lo
	v_cvt_f32_f64_e32 v16, v[30:31]
	v_cvt_f32_f64_e32 v17, v[14:15]
	;; [unrolled: 1-line block ×6, first 2 shown]
	v_add_co_u32 v20, vcc_lo, v53, s4
	v_add_co_ci_u32_e32 v21, vcc_lo, s3, v54, vcc_lo
	v_add_co_u32 v22, vcc_lo, v20, s4
	v_add_co_ci_u32_e32 v23, vcc_lo, s3, v21, vcc_lo
	;; [unrolled: 2-line block ×3, first 2 shown]
	global_store_dwordx2 v[39:40], v[0:1], off
	global_store_dwordx2 v[41:42], v[2:3], off
	;; [unrolled: 1-line block ×10, first 2 shown]
.LBB0_15:
	s_endpgm
	.section	.rodata,"a",@progbits
	.p2align	6, 0x0
	.amdhsa_kernel bluestein_single_fwd_len360_dim1_sp_op_CI_CI
		.amdhsa_group_segment_fixed_size 11520
		.amdhsa_private_segment_fixed_size 0
		.amdhsa_kernarg_size 104
		.amdhsa_user_sgpr_count 6
		.amdhsa_user_sgpr_private_segment_buffer 1
		.amdhsa_user_sgpr_dispatch_ptr 0
		.amdhsa_user_sgpr_queue_ptr 0
		.amdhsa_user_sgpr_kernarg_segment_ptr 1
		.amdhsa_user_sgpr_dispatch_id 0
		.amdhsa_user_sgpr_flat_scratch_init 0
		.amdhsa_user_sgpr_private_segment_size 0
		.amdhsa_wavefront_size32 1
		.amdhsa_uses_dynamic_stack 0
		.amdhsa_system_sgpr_private_segment_wavefront_offset 0
		.amdhsa_system_sgpr_workgroup_id_x 1
		.amdhsa_system_sgpr_workgroup_id_y 0
		.amdhsa_system_sgpr_workgroup_id_z 0
		.amdhsa_system_sgpr_workgroup_info 0
		.amdhsa_system_vgpr_workitem_id 0
		.amdhsa_next_free_vgpr 100
		.amdhsa_next_free_sgpr 16
		.amdhsa_reserve_vcc 1
		.amdhsa_reserve_flat_scratch 0
		.amdhsa_float_round_mode_32 0
		.amdhsa_float_round_mode_16_64 0
		.amdhsa_float_denorm_mode_32 3
		.amdhsa_float_denorm_mode_16_64 3
		.amdhsa_dx10_clamp 1
		.amdhsa_ieee_mode 1
		.amdhsa_fp16_overflow 0
		.amdhsa_workgroup_processor_mode 1
		.amdhsa_memory_ordered 1
		.amdhsa_forward_progress 0
		.amdhsa_shared_vgpr_count 0
		.amdhsa_exception_fp_ieee_invalid_op 0
		.amdhsa_exception_fp_denorm_src 0
		.amdhsa_exception_fp_ieee_div_zero 0
		.amdhsa_exception_fp_ieee_overflow 0
		.amdhsa_exception_fp_ieee_underflow 0
		.amdhsa_exception_fp_ieee_inexact 0
		.amdhsa_exception_int_div_zero 0
	.end_amdhsa_kernel
	.text
.Lfunc_end0:
	.size	bluestein_single_fwd_len360_dim1_sp_op_CI_CI, .Lfunc_end0-bluestein_single_fwd_len360_dim1_sp_op_CI_CI
                                        ; -- End function
	.section	.AMDGPU.csdata,"",@progbits
; Kernel info:
; codeLenInByte = 6568
; NumSgprs: 18
; NumVgprs: 100
; ScratchSize: 0
; MemoryBound: 0
; FloatMode: 240
; IeeeMode: 1
; LDSByteSize: 11520 bytes/workgroup (compile time only)
; SGPRBlocks: 2
; VGPRBlocks: 12
; NumSGPRsForWavesPerEU: 18
; NumVGPRsForWavesPerEU: 100
; Occupancy: 9
; WaveLimiterHint : 1
; COMPUTE_PGM_RSRC2:SCRATCH_EN: 0
; COMPUTE_PGM_RSRC2:USER_SGPR: 6
; COMPUTE_PGM_RSRC2:TRAP_HANDLER: 0
; COMPUTE_PGM_RSRC2:TGID_X_EN: 1
; COMPUTE_PGM_RSRC2:TGID_Y_EN: 0
; COMPUTE_PGM_RSRC2:TGID_Z_EN: 0
; COMPUTE_PGM_RSRC2:TIDIG_COMP_CNT: 0
	.text
	.p2alignl 6, 3214868480
	.fill 48, 4, 3214868480
	.type	__hip_cuid_7ea486a372957d2d,@object ; @__hip_cuid_7ea486a372957d2d
	.section	.bss,"aw",@nobits
	.globl	__hip_cuid_7ea486a372957d2d
__hip_cuid_7ea486a372957d2d:
	.byte	0                               ; 0x0
	.size	__hip_cuid_7ea486a372957d2d, 1

	.ident	"AMD clang version 19.0.0git (https://github.com/RadeonOpenCompute/llvm-project roc-6.4.0 25133 c7fe45cf4b819c5991fe208aaa96edf142730f1d)"
	.section	".note.GNU-stack","",@progbits
	.addrsig
	.addrsig_sym __hip_cuid_7ea486a372957d2d
	.amdgpu_metadata
---
amdhsa.kernels:
  - .args:
      - .actual_access:  read_only
        .address_space:  global
        .offset:         0
        .size:           8
        .value_kind:     global_buffer
      - .actual_access:  read_only
        .address_space:  global
        .offset:         8
        .size:           8
        .value_kind:     global_buffer
      - .actual_access:  read_only
        .address_space:  global
        .offset:         16
        .size:           8
        .value_kind:     global_buffer
      - .actual_access:  read_only
        .address_space:  global
        .offset:         24
        .size:           8
        .value_kind:     global_buffer
      - .actual_access:  read_only
        .address_space:  global
        .offset:         32
        .size:           8
        .value_kind:     global_buffer
      - .offset:         40
        .size:           8
        .value_kind:     by_value
      - .address_space:  global
        .offset:         48
        .size:           8
        .value_kind:     global_buffer
      - .address_space:  global
        .offset:         56
        .size:           8
        .value_kind:     global_buffer
      - .address_space:  global
        .offset:         64
        .size:           8
        .value_kind:     global_buffer
      - .address_space:  global
        .offset:         72
        .size:           8
        .value_kind:     global_buffer
      - .offset:         80
        .size:           4
        .value_kind:     by_value
      - .address_space:  global
        .offset:         88
        .size:           8
        .value_kind:     global_buffer
      - .address_space:  global
        .offset:         96
        .size:           8
        .value_kind:     global_buffer
    .group_segment_fixed_size: 11520
    .kernarg_segment_align: 8
    .kernarg_segment_size: 104
    .language:       OpenCL C
    .language_version:
      - 2
      - 0
    .max_flat_workgroup_size: 240
    .name:           bluestein_single_fwd_len360_dim1_sp_op_CI_CI
    .private_segment_fixed_size: 0
    .sgpr_count:     18
    .sgpr_spill_count: 0
    .symbol:         bluestein_single_fwd_len360_dim1_sp_op_CI_CI.kd
    .uniform_work_group_size: 1
    .uses_dynamic_stack: false
    .vgpr_count:     100
    .vgpr_spill_count: 0
    .wavefront_size: 32
    .workgroup_processor_mode: 1
amdhsa.target:   amdgcn-amd-amdhsa--gfx1030
amdhsa.version:
  - 1
  - 2
...

	.end_amdgpu_metadata
